;; amdgpu-corpus repo=zjin-lcf/HeCBench kind=compiled arch=gfx906 opt=O3
	.amdgcn_target "amdgcn-amd-amdhsa--gfx906"
	.amdhsa_code_object_version 6
	.text
	.protected	_Z6solveriiiPKiS0_PKdPK13CustomComplexIdES6_S6_S6_S2_PdS7_ ; -- Begin function _Z6solveriiiPKiS0_PKdPK13CustomComplexIdES6_S6_S6_S2_PdS7_
	.globl	_Z6solveriiiPKiS0_PKdPK13CustomComplexIdES6_S6_S6_S2_PdS7_
	.p2align	8
	.type	_Z6solveriiiPKiS0_PKdPK13CustomComplexIdES6_S6_S6_S2_PdS7_,@function
_Z6solveriiiPKiS0_PKdPK13CustomComplexIdES6_S6_S6_S2_PdS7_: ; @_Z6solveriiiPKiS0_PKdPK13CustomComplexIdES6_S6_S6_S2_PdS7_
; %bb.0:
	s_load_dwordx4 s[36:39], s[4:5], 0x0
	s_load_dwordx4 s[28:31], s[4:5], 0x50
	v_mov_b32_e32 v7, 0
	v_mov_b32_e32 v11, 0
	;; [unrolled: 1-line block ×7, first 2 shown]
	s_waitcnt lgkmcnt(0)
	s_cmp_ge_i32 s6, s36
	v_mov_b32_e32 v12, 0
	v_mov_b32_e32 v16, 0
	;; [unrolled: 1-line block ×5, first 2 shown]
	s_cbranch_scc1 .LBB0_10
; %bb.1:
	s_load_dwordx8 s[12:19], s[4:5], 0x30
	s_load_dwordx8 s[20:27], s[4:5], 0x10
	s_load_dword s33, s[4:5], 0x60
	s_cmp_lt_i32 s7, s37
	s_cselect_b64 s[2:3], -1, 0
	s_add_u32 s10, s4, 0x60
	v_mov_b32_e32 v15, 0
	v_cndmask_b32_e64 v1, 0, 1, s[2:3]
	v_mov_b32_e32 v11, 0
	v_mov_b32_e32 v7, 0
	;; [unrolled: 1-line block ×5, first 2 shown]
	v_cmp_gt_i32_e64 s[0:1], s38, v0
	s_addc_u32 s11, s5, 0
	s_mul_i32 s39, s7, s38
	v_mov_b32_e32 v16, 0
	v_mov_b32_e32 v12, 0
	v_mov_b32_e32 v8, 0
	v_mov_b32_e32 v14, 0
	v_mov_b32_e32 v10, 0
	v_mov_b32_e32 v6, 0
	v_cmp_ne_u32_e64 s[2:3], 1, v1
	s_branch .LBB0_3
.LBB0_2:                                ;   in Loop: Header=BB0_3 Depth=1
	s_waitcnt lgkmcnt(0)
	s_add_i32 s6, s33, s6
	s_cmp_ge_i32 s6, s36
	s_cbranch_scc1 .LBB0_10
.LBB0_3:                                ; =>This Loop Header: Depth=1
                                        ;     Child Loop BB0_6 Depth 2
                                        ;       Child Loop BB0_8 Depth 3
	s_and_b64 vcc, exec, s[2:3]
	s_cbranch_vccnz .LBB0_2
; %bb.4:                                ;   in Loop: Header=BB0_3 Depth=1
	s_load_dword s50, s[10:11], 0x4
	s_mul_i32 s51, s6, s38
	s_mov_b32 s52, s39
	s_mov_b32 s34, s7
	s_waitcnt lgkmcnt(0)
	s_mul_i32 s53, s38, s50
	s_branch .LBB0_6
.LBB0_5:                                ;   in Loop: Header=BB0_6 Depth=2
	s_or_b64 exec, exec, s[44:45]
	s_add_i32 s34, s50, s34
	s_add_i32 s52, s52, s53
	s_cmp_ge_i32 s34, s37
	s_cbranch_scc1 .LBB0_2
.LBB0_6:                                ;   Parent Loop BB0_3 Depth=1
                                        ; =>  This Loop Header: Depth=2
                                        ;       Child Loop BB0_8 Depth 3
	s_and_saveexec_b64 s[44:45], s[0:1]
	s_cbranch_execz .LBB0_5
; %bb.7:                                ;   in Loop: Header=BB0_6 Depth=2
	s_ashr_i32 s35, s34, 31
	s_lshl_b64 s[4:5], s[34:35], 2
	s_add_u32 s4, s20, s4
	s_addc_u32 s5, s21, s5
	s_load_dword s4, s[4:5], 0x0
	s_mov_b64 s[48:49], 0
	v_mov_b32_e32 v23, v0
	s_waitcnt lgkmcnt(0)
	s_ashr_i32 s5, s4, 31
	s_lshl_b64 s[4:5], s[4:5], 2
	s_add_u32 s4, s22, s4
	s_addc_u32 s5, s23, s5
	s_load_dword s4, s[4:5], 0x0
	s_waitcnt lgkmcnt(0)
	s_add_i32 s8, s4, s51
	s_ashr_i32 s9, s8, 31
	s_ashr_i32 s5, s4, 31
	s_lshl_b64 s[8:9], s[8:9], 4
	s_add_u32 s46, s12, s8
	s_addc_u32 s47, s13, s9
	s_add_u32 s8, s14, s8
	s_addc_u32 s9, s15, s9
	s_load_dwordx4 s[40:43], s[8:9], 0x0
	s_load_dwordx4 s[56:59], s[46:47], 0x0
	s_lshl_b64 s[4:5], s[4:5], 3
	s_add_u32 s4, s18, s4
	s_addc_u32 s5, s19, s5
	s_waitcnt lgkmcnt(0)
	v_mov_b32_e32 v1, s42
	v_mov_b32_e32 v3, s40
	;; [unrolled: 1-line block ×4, first 2 shown]
	v_mul_f64 v[17:18], s[58:59], v[1:2]
	v_mul_f64 v[19:20], s[58:59], v[3:4]
	s_load_dwordx2 s[4:5], s[4:5], 0x0
	v_fma_f64 v[3:4], s[56:57], v[3:4], v[17:18]
	v_fma_f64 v[1:2], s[56:57], v[1:2], -v[19:20]
	v_mul_f64 v[3:4], v[3:4], 0.5
	v_mul_f64 v[1:2], v[1:2], 0.5
	s_waitcnt lgkmcnt(0)
	v_mul_f64 v[17:18], s[4:5], v[3:4]
	v_mul_f64 v[19:20], s[4:5], v[1:2]
	s_load_dword s4, s[10:11], 0xc
	s_load_dwordx4 s[40:43], s[24:25], 0x0
	s_load_dwordx2 s[46:47], s[24:25], 0x10
	s_waitcnt lgkmcnt(0)
	s_and_b32 s35, s4, 0xffff
.LBB0_8:                                ;   Parent Loop BB0_3 Depth=1
                                        ;     Parent Loop BB0_6 Depth=2
                                        ; =>    This Inner Loop Header: Depth=3
	v_add_u32_e32 v1, s52, v23
	v_ashrrev_i32_e32 v2, 31, v1
	v_lshlrev_b64 v[21:22], 4, v[1:2]
	v_mov_b32_e32 v3, s27
	v_add_co_u32_e32 v1, vcc, s26, v21
	v_addc_co_u32_e32 v2, vcc, v3, v22, vcc
	global_load_dwordx4 v[1:4], v[1:2], off
	v_mov_b32_e32 v24, s17
	v_add_co_u32_e32 v21, vcc, s16, v21
	v_addc_co_u32_e32 v22, vcc, v24, v22, vcc
	global_load_dwordx4 v[24:27], v[21:22], off
	v_add_u32_e32 v23, s35, v23
	s_waitcnt vmcnt(1)
	v_add_f64 v[21:22], -v[3:4], 0
	v_add_f64 v[28:29], s[40:41], -v[1:2]
	v_add_f64 v[30:31], s[42:43], -v[1:2]
	;; [unrolled: 1-line block ×3, first 2 shown]
	v_mul_f64 v[34:35], v[21:22], v[21:22]
	v_fma_f64 v[36:37], v[28:29], v[28:29], v[34:35]
	v_fma_f64 v[38:39], v[30:31], v[30:31], v[34:35]
	;; [unrolled: 1-line block ×3, first 2 shown]
	v_div_scale_f64 v[40:41], s[4:5], v[36:37], v[36:37], 1.0
	v_div_scale_f64 v[44:45], s[4:5], v[38:39], v[38:39], 1.0
	;; [unrolled: 1-line block ×3, first 2 shown]
	v_div_scale_f64 v[42:43], vcc, 1.0, v[36:37], 1.0
	v_div_scale_f64 v[46:47], s[4:5], 1.0, v[38:39], 1.0
	v_div_scale_f64 v[50:51], s[8:9], 1.0, v[34:35], 1.0
	v_rcp_f64_e32 v[52:53], v[40:41]
	v_rcp_f64_e32 v[54:55], v[44:45]
	;; [unrolled: 1-line block ×3, first 2 shown]
	v_fma_f64 v[58:59], -v[40:41], v[52:53], 1.0
	v_fma_f64 v[52:53], v[52:53], v[58:59], v[52:53]
	v_fma_f64 v[58:59], -v[44:45], v[54:55], 1.0
	v_fma_f64 v[54:55], v[54:55], v[58:59], v[54:55]
	;; [unrolled: 2-line block ×6, first 2 shown]
	v_mul_f64 v[58:59], v[42:43], v[52:53]
	v_fma_f64 v[40:41], -v[40:41], v[58:59], v[42:43]
	v_mul_f64 v[42:43], v[46:47], v[54:55]
	v_div_fmas_f64 v[40:41], v[40:41], v[52:53], v[58:59]
	v_fma_f64 v[44:45], -v[44:45], v[42:43], v[46:47]
	v_mul_f64 v[46:47], v[50:51], v[56:57]
	s_mov_b64 vcc, s[4:5]
	v_div_fmas_f64 v[42:43], v[44:45], v[54:55], v[42:43]
	v_fma_f64 v[48:49], -v[48:49], v[46:47], v[50:51]
	s_mov_b64 vcc, s[8:9]
	v_mul_f64 v[50:51], v[3:4], v[21:22]
	v_mul_f64 v[21:22], v[1:2], v[21:22]
	v_div_fmas_f64 v[44:45], v[48:49], v[56:57], v[46:47]
	v_cmp_le_i32_e32 vcc, s38, v23
	v_fma_f64 v[46:47], v[1:2], v[28:29], v[50:51]
	v_fma_f64 v[48:49], v[1:2], v[30:31], v[50:51]
	;; [unrolled: 1-line block ×3, first 2 shown]
	v_fma_f64 v[28:29], v[3:4], v[28:29], -v[21:22]
	v_fma_f64 v[30:31], v[3:4], v[30:31], -v[21:22]
	;; [unrolled: 1-line block ×3, first 2 shown]
	v_div_fixup_f64 v[21:22], v[40:41], v[36:37], 1.0
	v_div_fixup_f64 v[32:33], v[42:43], v[38:39], 1.0
	s_or_b64 s[48:49], vcc, s[48:49]
	v_div_fixup_f64 v[34:35], v[44:45], v[34:35], 1.0
	v_mul_f64 v[36:37], v[46:47], v[21:22]
	v_mul_f64 v[21:22], v[28:29], v[21:22]
	;; [unrolled: 1-line block ×6, first 2 shown]
	s_waitcnt vmcnt(0)
	v_mul_f64 v[32:33], v[26:27], v[36:37]
	v_mul_f64 v[34:35], v[26:27], v[21:22]
	;; [unrolled: 1-line block ×6, first 2 shown]
	v_fma_f64 v[21:22], v[24:25], v[21:22], v[32:33]
	v_fma_f64 v[32:33], v[24:25], v[36:37], -v[34:35]
	v_fma_f64 v[30:31], v[24:25], v[30:31], v[38:39]
	v_fma_f64 v[28:29], v[24:25], v[28:29], -v[40:41]
	;; [unrolled: 2-line block ×3, first 2 shown]
	v_mul_f64 v[24:25], v[19:20], v[21:22]
	v_mul_f64 v[26:27], v[19:20], v[32:33]
	;; [unrolled: 1-line block ×6, first 2 shown]
	v_fma_f64 v[24:25], v[17:18], v[32:33], -v[24:25]
	v_fma_f64 v[21:22], v[17:18], v[21:22], v[26:27]
	v_fma_f64 v[26:27], v[17:18], v[28:29], -v[34:35]
	v_fma_f64 v[28:29], v[17:18], v[30:31], v[36:37]
	;; [unrolled: 2-line block ×3, first 2 shown]
	v_add_f64 v[15:16], v[15:16], v[24:25]
	v_add_f64 v[13:14], v[13:14], v[21:22]
	;; [unrolled: 1-line block ×6, first 2 shown]
	s_andn2_b64 exec, exec, s[48:49]
	s_cbranch_execnz .LBB0_8
; %bb.9:                                ;   in Loop: Header=BB0_6 Depth=2
	s_or_b64 exec, exec, s[48:49]
	s_branch .LBB0_5
.LBB0_10:
	v_mov_b32_e32 v17, 0
	s_mov_b64 s[0:1], exec
	v_bfrev_b32_e32 v18, 1
.LBB0_11:                               ; =>This Inner Loop Header: Depth=1
	s_ff1_i32_b64 s4, s[0:1]
	v_readlane_b32 s3, v16, s4
	v_readlane_b32 s2, v15, s4
	v_add_f64 v[17:18], v[17:18], s[2:3]
	s_lshl_b64 s[2:3], 1, s4
	s_andn2_b64 s[0:1], s[0:1], s[2:3]
	s_cmp_lg_u64 s[0:1], 0
	s_cbranch_scc1 .LBB0_11
; %bb.12:
	v_mbcnt_lo_u32_b32 v0, exec_lo, 0
	v_mbcnt_hi_u32_b32 v0, exec_hi, v0
	v_cmp_eq_u32_e32 vcc, 0, v0
	s_and_saveexec_b64 s[0:1], vcc
	s_xor_b64 s[0:1], exec, s[0:1]
	s_cbranch_execz .LBB0_16
; %bb.13:
	s_load_dwordx2 s[4:5], s[28:29], 0x0
	s_mov_b64 s[2:3], 0
	v_mov_b32_e32 v4, 0
	s_waitcnt lgkmcnt(0)
	v_mov_b32_e32 v2, s4
	v_mov_b32_e32 v3, s5
.LBB0_14:                               ; =>This Inner Loop Header: Depth=1
	v_add_f64 v[0:1], v[2:3], v[17:18]
	global_atomic_cmpswap_x2 v[0:1], v4, v[0:3], s[28:29] glc
	s_waitcnt vmcnt(0)
	v_cmp_eq_u64_e32 vcc, v[0:1], v[2:3]
	v_mov_b32_e32 v3, v1
	s_or_b64 s[2:3], vcc, s[2:3]
	v_mov_b32_e32 v2, v0
	s_andn2_b64 exec, exec, s[2:3]
	s_cbranch_execnz .LBB0_14
; %bb.15:
	s_or_b64 exec, exec, s[2:3]
.LBB0_16:
	s_or_b64 exec, exec, s[0:1]
	v_mov_b32_e32 v15, 0
	s_mov_b64 s[0:1], exec
	v_bfrev_b32_e32 v16, 1
.LBB0_17:                               ; =>This Inner Loop Header: Depth=1
	s_ff1_i32_b64 s4, s[0:1]
	v_readlane_b32 s3, v14, s4
	v_readlane_b32 s2, v13, s4
	v_add_f64 v[15:16], v[15:16], s[2:3]
	s_lshl_b64 s[2:3], 1, s4
	s_andn2_b64 s[0:1], s[0:1], s[2:3]
	s_cmp_lg_u64 s[0:1], 0
	s_cbranch_scc1 .LBB0_17
; %bb.18:
	v_mbcnt_lo_u32_b32 v0, exec_lo, 0
	v_mbcnt_hi_u32_b32 v0, exec_hi, v0
	v_cmp_eq_u32_e32 vcc, 0, v0
	s_and_saveexec_b64 s[0:1], vcc
	s_xor_b64 s[0:1], exec, s[0:1]
	s_cbranch_execz .LBB0_22
; %bb.19:
	s_load_dwordx2 s[4:5], s[30:31], 0x0
	s_mov_b64 s[2:3], 0
	v_mov_b32_e32 v4, 0
	s_waitcnt lgkmcnt(0)
	v_mov_b32_e32 v2, s4
	v_mov_b32_e32 v3, s5
.LBB0_20:                               ; =>This Inner Loop Header: Depth=1
	v_add_f64 v[0:1], v[2:3], v[15:16]
	global_atomic_cmpswap_x2 v[0:1], v4, v[0:3], s[30:31] glc
	s_waitcnt vmcnt(0)
	v_cmp_eq_u64_e32 vcc, v[0:1], v[2:3]
	v_mov_b32_e32 v3, v1
	s_or_b64 s[2:3], vcc, s[2:3]
	v_mov_b32_e32 v2, v0
	s_andn2_b64 exec, exec, s[2:3]
	s_cbranch_execnz .LBB0_20
; %bb.21:
	s_or_b64 exec, exec, s[2:3]
.LBB0_22:
	s_or_b64 exec, exec, s[0:1]
	v_mov_b32_e32 v13, 0
	s_mov_b64 s[0:1], exec
	v_bfrev_b32_e32 v14, 1
.LBB0_23:                               ; =>This Inner Loop Header: Depth=1
	s_ff1_i32_b64 s4, s[0:1]
	v_readlane_b32 s3, v12, s4
	v_readlane_b32 s2, v11, s4
	v_add_f64 v[13:14], v[13:14], s[2:3]
	s_lshl_b64 s[2:3], 1, s4
	s_andn2_b64 s[0:1], s[0:1], s[2:3]
	s_cmp_lg_u64 s[0:1], 0
	s_cbranch_scc1 .LBB0_23
; %bb.24:
	v_mbcnt_lo_u32_b32 v0, exec_lo, 0
	v_mbcnt_hi_u32_b32 v0, exec_hi, v0
	v_cmp_eq_u32_e32 vcc, 0, v0
	s_and_saveexec_b64 s[0:1], vcc
	s_xor_b64 s[0:1], exec, s[0:1]
	s_cbranch_execz .LBB0_28
; %bb.25:
	s_load_dwordx2 s[4:5], s[28:29], 0x8
	s_mov_b64 s[2:3], 0
	v_mov_b32_e32 v4, 0
	s_waitcnt lgkmcnt(0)
	v_mov_b32_e32 v2, s4
	v_mov_b32_e32 v3, s5
.LBB0_26:                               ; =>This Inner Loop Header: Depth=1
	v_add_f64 v[0:1], v[2:3], v[13:14]
	global_atomic_cmpswap_x2 v[0:1], v4, v[0:3], s[28:29] offset:8 glc
	s_waitcnt vmcnt(0)
	v_cmp_eq_u64_e32 vcc, v[0:1], v[2:3]
	v_mov_b32_e32 v3, v1
	s_or_b64 s[2:3], vcc, s[2:3]
	v_mov_b32_e32 v2, v0
	s_andn2_b64 exec, exec, s[2:3]
	s_cbranch_execnz .LBB0_26
; %bb.27:
	s_or_b64 exec, exec, s[2:3]
.LBB0_28:
	s_or_b64 exec, exec, s[0:1]
	v_mov_b32_e32 v11, 0
	s_mov_b64 s[0:1], exec
	v_bfrev_b32_e32 v12, 1
.LBB0_29:                               ; =>This Inner Loop Header: Depth=1
	s_ff1_i32_b64 s4, s[0:1]
	v_readlane_b32 s3, v10, s4
	v_readlane_b32 s2, v9, s4
	v_add_f64 v[11:12], v[11:12], s[2:3]
	s_lshl_b64 s[2:3], 1, s4
	s_andn2_b64 s[0:1], s[0:1], s[2:3]
	s_cmp_lg_u64 s[0:1], 0
	s_cbranch_scc1 .LBB0_29
; %bb.30:
	v_mbcnt_lo_u32_b32 v0, exec_lo, 0
	v_mbcnt_hi_u32_b32 v0, exec_hi, v0
	v_cmp_eq_u32_e32 vcc, 0, v0
	s_and_saveexec_b64 s[0:1], vcc
	s_xor_b64 s[0:1], exec, s[0:1]
	s_cbranch_execz .LBB0_34
; %bb.31:
	s_load_dwordx2 s[4:5], s[30:31], 0x8
	s_mov_b64 s[2:3], 0
	v_mov_b32_e32 v4, 0
	s_waitcnt lgkmcnt(0)
	v_mov_b32_e32 v2, s4
	v_mov_b32_e32 v3, s5
.LBB0_32:                               ; =>This Inner Loop Header: Depth=1
	v_add_f64 v[0:1], v[2:3], v[11:12]
	global_atomic_cmpswap_x2 v[0:1], v4, v[0:3], s[30:31] offset:8 glc
	s_waitcnt vmcnt(0)
	v_cmp_eq_u64_e32 vcc, v[0:1], v[2:3]
	v_mov_b32_e32 v3, v1
	s_or_b64 s[2:3], vcc, s[2:3]
	v_mov_b32_e32 v2, v0
	s_andn2_b64 exec, exec, s[2:3]
	s_cbranch_execnz .LBB0_32
; %bb.33:
	s_or_b64 exec, exec, s[2:3]
.LBB0_34:
	;; [unrolled: 40-line block ×3, first 2 shown]
	s_or_b64 exec, exec, s[0:1]
	v_mov_b32_e32 v7, 0
	s_mov_b64 s[0:1], exec
	v_bfrev_b32_e32 v8, 1
.LBB0_41:                               ; =>This Inner Loop Header: Depth=1
	s_ff1_i32_b64 s4, s[0:1]
	v_readlane_b32 s3, v6, s4
	v_readlane_b32 s2, v5, s4
	v_add_f64 v[7:8], v[7:8], s[2:3]
	s_lshl_b64 s[2:3], 1, s4
	s_andn2_b64 s[0:1], s[0:1], s[2:3]
	s_cmp_lg_u64 s[0:1], 0
	s_cbranch_scc1 .LBB0_41
; %bb.42:
	v_mbcnt_lo_u32_b32 v0, exec_lo, 0
	v_mbcnt_hi_u32_b32 v0, exec_hi, v0
	v_cmp_eq_u32_e32 vcc, 0, v0
	s_and_saveexec_b64 s[0:1], vcc
	s_xor_b64 s[0:1], exec, s[0:1]
	s_cbranch_execz .LBB0_45
; %bb.43:
	s_load_dwordx2 s[2:3], s[30:31], 0x10
	s_mov_b64 s[0:1], 0
	v_mov_b32_e32 v4, 0
	s_waitcnt lgkmcnt(0)
	v_mov_b32_e32 v2, s2
	v_mov_b32_e32 v3, s3
.LBB0_44:                               ; =>This Inner Loop Header: Depth=1
	v_add_f64 v[0:1], v[2:3], v[7:8]
	global_atomic_cmpswap_x2 v[0:1], v4, v[0:3], s[30:31] offset:16 glc
	s_waitcnt vmcnt(0)
	v_cmp_eq_u64_e32 vcc, v[0:1], v[2:3]
	v_mov_b32_e32 v3, v1
	s_or_b64 s[0:1], vcc, s[0:1]
	v_mov_b32_e32 v2, v0
	s_andn2_b64 exec, exec, s[0:1]
	s_cbranch_execnz .LBB0_44
.LBB0_45:
	s_endpgm
	.section	.rodata,"a",@progbits
	.p2align	6, 0x0
	.amdhsa_kernel _Z6solveriiiPKiS0_PKdPK13CustomComplexIdES6_S6_S6_S2_PdS7_
		.amdhsa_group_segment_fixed_size 0
		.amdhsa_private_segment_fixed_size 0
		.amdhsa_kernarg_size 352
		.amdhsa_user_sgpr_count 6
		.amdhsa_user_sgpr_private_segment_buffer 1
		.amdhsa_user_sgpr_dispatch_ptr 0
		.amdhsa_user_sgpr_queue_ptr 0
		.amdhsa_user_sgpr_kernarg_segment_ptr 1
		.amdhsa_user_sgpr_dispatch_id 0
		.amdhsa_user_sgpr_flat_scratch_init 0
		.amdhsa_user_sgpr_private_segment_size 0
		.amdhsa_uses_dynamic_stack 0
		.amdhsa_system_sgpr_private_segment_wavefront_offset 0
		.amdhsa_system_sgpr_workgroup_id_x 1
		.amdhsa_system_sgpr_workgroup_id_y 1
		.amdhsa_system_sgpr_workgroup_id_z 0
		.amdhsa_system_sgpr_workgroup_info 0
		.amdhsa_system_vgpr_workitem_id 0
		.amdhsa_next_free_vgpr 60
		.amdhsa_next_free_sgpr 60
		.amdhsa_reserve_vcc 1
		.amdhsa_reserve_flat_scratch 0
		.amdhsa_float_round_mode_32 0
		.amdhsa_float_round_mode_16_64 0
		.amdhsa_float_denorm_mode_32 3
		.amdhsa_float_denorm_mode_16_64 3
		.amdhsa_dx10_clamp 1
		.amdhsa_ieee_mode 1
		.amdhsa_fp16_overflow 0
		.amdhsa_exception_fp_ieee_invalid_op 0
		.amdhsa_exception_fp_denorm_src 0
		.amdhsa_exception_fp_ieee_div_zero 0
		.amdhsa_exception_fp_ieee_overflow 0
		.amdhsa_exception_fp_ieee_underflow 0
		.amdhsa_exception_fp_ieee_inexact 0
		.amdhsa_exception_int_div_zero 0
	.end_amdhsa_kernel
	.text
.Lfunc_end0:
	.size	_Z6solveriiiPKiS0_PKdPK13CustomComplexIdES6_S6_S6_S2_PdS7_, .Lfunc_end0-_Z6solveriiiPKiS0_PKdPK13CustomComplexIdES6_S6_S6_S2_PdS7_
                                        ; -- End function
	.set _Z6solveriiiPKiS0_PKdPK13CustomComplexIdES6_S6_S6_S2_PdS7_.num_vgpr, 60
	.set _Z6solveriiiPKiS0_PKdPK13CustomComplexIdES6_S6_S6_S2_PdS7_.num_agpr, 0
	.set _Z6solveriiiPKiS0_PKdPK13CustomComplexIdES6_S6_S6_S2_PdS7_.numbered_sgpr, 60
	.set _Z6solveriiiPKiS0_PKdPK13CustomComplexIdES6_S6_S6_S2_PdS7_.num_named_barrier, 0
	.set _Z6solveriiiPKiS0_PKdPK13CustomComplexIdES6_S6_S6_S2_PdS7_.private_seg_size, 0
	.set _Z6solveriiiPKiS0_PKdPK13CustomComplexIdES6_S6_S6_S2_PdS7_.uses_vcc, 1
	.set _Z6solveriiiPKiS0_PKdPK13CustomComplexIdES6_S6_S6_S2_PdS7_.uses_flat_scratch, 0
	.set _Z6solveriiiPKiS0_PKdPK13CustomComplexIdES6_S6_S6_S2_PdS7_.has_dyn_sized_stack, 0
	.set _Z6solveriiiPKiS0_PKdPK13CustomComplexIdES6_S6_S6_S2_PdS7_.has_recursion, 0
	.set _Z6solveriiiPKiS0_PKdPK13CustomComplexIdES6_S6_S6_S2_PdS7_.has_indirect_call, 0
	.section	.AMDGPU.csdata,"",@progbits
; Kernel info:
; codeLenInByte = 2312
; TotalNumSgprs: 64
; NumVgprs: 60
; ScratchSize: 0
; MemoryBound: 0
; FloatMode: 240
; IeeeMode: 1
; LDSByteSize: 0 bytes/workgroup (compile time only)
; SGPRBlocks: 7
; VGPRBlocks: 14
; NumSGPRsForWavesPerEU: 64
; NumVGPRsForWavesPerEU: 60
; Occupancy: 4
; WaveLimiterHint : 1
; COMPUTE_PGM_RSRC2:SCRATCH_EN: 0
; COMPUTE_PGM_RSRC2:USER_SGPR: 6
; COMPUTE_PGM_RSRC2:TRAP_HANDLER: 0
; COMPUTE_PGM_RSRC2:TGID_X_EN: 1
; COMPUTE_PGM_RSRC2:TGID_Y_EN: 1
; COMPUTE_PGM_RSRC2:TGID_Z_EN: 0
; COMPUTE_PGM_RSRC2:TIDIG_COMP_CNT: 0
	.section	.AMDGPU.gpr_maximums,"",@progbits
	.set amdgpu.max_num_vgpr, 0
	.set amdgpu.max_num_agpr, 0
	.set amdgpu.max_num_sgpr, 0
	.section	.AMDGPU.csdata,"",@progbits
	.type	__hip_cuid_8e581f9a1eff73e6,@object ; @__hip_cuid_8e581f9a1eff73e6
	.section	.bss,"aw",@nobits
	.globl	__hip_cuid_8e581f9a1eff73e6
__hip_cuid_8e581f9a1eff73e6:
	.byte	0                               ; 0x0
	.size	__hip_cuid_8e581f9a1eff73e6, 1

	.ident	"AMD clang version 22.0.0git (https://github.com/RadeonOpenCompute/llvm-project roc-7.2.4 26084 f58b06dce1f9c15707c5f808fd002e18c2accf7e)"
	.section	".note.GNU-stack","",@progbits
	.addrsig
	.addrsig_sym __hip_cuid_8e581f9a1eff73e6
	.amdgpu_metadata
---
amdhsa.kernels:
  - .args:
      - .offset:         0
        .size:           4
        .value_kind:     by_value
      - .offset:         4
        .size:           4
        .value_kind:     by_value
      - .offset:         8
        .size:           4
        .value_kind:     by_value
      - .actual_access:  read_only
        .address_space:  global
        .offset:         16
        .size:           8
        .value_kind:     global_buffer
      - .actual_access:  read_only
        .address_space:  global
        .offset:         24
        .size:           8
        .value_kind:     global_buffer
      - .actual_access:  read_only
        .address_space:  global
        .offset:         32
        .size:           8
        .value_kind:     global_buffer
      - .actual_access:  read_only
        .address_space:  global
        .offset:         40
        .size:           8
        .value_kind:     global_buffer
      - .actual_access:  read_only
        .address_space:  global
        .offset:         48
        .size:           8
        .value_kind:     global_buffer
      - .actual_access:  read_only
        .address_space:  global
        .offset:         56
        .size:           8
        .value_kind:     global_buffer
      - .actual_access:  read_only
        .address_space:  global
        .offset:         64
        .size:           8
        .value_kind:     global_buffer
      - .actual_access:  read_only
        .address_space:  global
        .offset:         72
        .size:           8
        .value_kind:     global_buffer
      - .address_space:  global
        .offset:         80
        .size:           8
        .value_kind:     global_buffer
      - .address_space:  global
        .offset:         88
        .size:           8
        .value_kind:     global_buffer
      - .offset:         96
        .size:           4
        .value_kind:     hidden_block_count_x
      - .offset:         100
        .size:           4
        .value_kind:     hidden_block_count_y
      - .offset:         104
        .size:           4
        .value_kind:     hidden_block_count_z
      - .offset:         108
        .size:           2
        .value_kind:     hidden_group_size_x
      - .offset:         110
        .size:           2
        .value_kind:     hidden_group_size_y
      - .offset:         112
        .size:           2
        .value_kind:     hidden_group_size_z
      - .offset:         114
        .size:           2
        .value_kind:     hidden_remainder_x
      - .offset:         116
        .size:           2
        .value_kind:     hidden_remainder_y
      - .offset:         118
        .size:           2
        .value_kind:     hidden_remainder_z
      - .offset:         136
        .size:           8
        .value_kind:     hidden_global_offset_x
      - .offset:         144
        .size:           8
        .value_kind:     hidden_global_offset_y
      - .offset:         152
        .size:           8
        .value_kind:     hidden_global_offset_z
      - .offset:         160
        .size:           2
        .value_kind:     hidden_grid_dims
    .group_segment_fixed_size: 0
    .kernarg_segment_align: 8
    .kernarg_segment_size: 352
    .language:       OpenCL C
    .language_version:
      - 2
      - 0
    .max_flat_workgroup_size: 1024
    .name:           _Z6solveriiiPKiS0_PKdPK13CustomComplexIdES6_S6_S6_S2_PdS7_
    .private_segment_fixed_size: 0
    .sgpr_count:     64
    .sgpr_spill_count: 0
    .symbol:         _Z6solveriiiPKiS0_PKdPK13CustomComplexIdES6_S6_S6_S2_PdS7_.kd
    .uniform_work_group_size: 1
    .uses_dynamic_stack: false
    .vgpr_count:     60
    .vgpr_spill_count: 0
    .wavefront_size: 64
amdhsa.target:   amdgcn-amd-amdhsa--gfx906
amdhsa.version:
  - 1
  - 2
...

	.end_amdgpu_metadata
